;; amdgpu-corpus repo=ROCm/rocFFT kind=compiled arch=gfx950 opt=O3
	.text
	.amdgcn_target "amdgcn-amd-amdhsa--gfx950"
	.amdhsa_code_object_version 6
	.protected	fft_rtc_fwd_len192_factors_8_3_8_wgs_192_tpt_24_dim2_dp_op_CI_CI_sbrc_aligned_dirReg ; -- Begin function fft_rtc_fwd_len192_factors_8_3_8_wgs_192_tpt_24_dim2_dp_op_CI_CI_sbrc_aligned_dirReg
	.globl	fft_rtc_fwd_len192_factors_8_3_8_wgs_192_tpt_24_dim2_dp_op_CI_CI_sbrc_aligned_dirReg
	.p2align	8
	.type	fft_rtc_fwd_len192_factors_8_3_8_wgs_192_tpt_24_dim2_dp_op_CI_CI_sbrc_aligned_dirReg,@function
fft_rtc_fwd_len192_factors_8_3_8_wgs_192_tpt_24_dim2_dp_op_CI_CI_sbrc_aligned_dirReg: ; @fft_rtc_fwd_len192_factors_8_3_8_wgs_192_tpt_24_dim2_dp_op_CI_CI_sbrc_aligned_dirReg
; %bb.0:
	s_load_dwordx8 s[4:11], s[0:1], 0x0
	v_mul_u32_u24_e32 v2, 0x156, v0
	v_lshrrev_b32_e32 v38, 16, v2
	s_load_dwordx4 s[12:15], s[0:1], 0x50
	v_mov_b32_e32 v27, 0
	s_waitcnt lgkmcnt(0)
	s_load_dword s3, s[6:7], 0x8
	s_load_dwordx4 s[16:19], s[8:9], 0x0
	s_load_dwordx2 s[0:1], s[8:9], 0x10
	v_and_b32_e32 v46, 7, v0
	v_lshrrev_b32_e32 v49, 3, v0
	v_lshlrev_b32_e32 v47, 4, v46
	s_waitcnt lgkmcnt(0)
	s_add_i32 s3, s3, -1
	s_lshr_b32 s6, s3, 3
	s_add_i32 s7, s6, 1
	v_cvt_f32_u32_e32 v1, s7
	s_not_b32 s6, s6
	s_mov_b32 s3, 0
	v_mul_lo_u32 v26, s18, v38
	v_rcp_iflag_f32_e32 v3, v1
	v_mul_lo_u16_e32 v1, 0xc0, v38
	v_sub_u16_e32 v1, v0, v1
	v_add_u32_e32 v54, 24, v49
	v_mul_f32_e32 v2, 0x4f7ffffe, v3
	v_cvt_u32_f32_e32 v2, v2
	v_add_u32_e32 v52, 48, v49
	v_lshlrev_b32_e32 v51, 7, v52
	v_readfirstlane_b32 s8, v2
	s_mul_i32 s6, s6, s8
	s_mul_hi_u32 s6, s8, s6
	s_add_i32 s8, s8, s6
	s_mul_hi_u32 s6, s2, s8
	s_mul_i32 s8, s6, s7
	s_sub_i32 s8, s2, s8
	s_add_i32 s9, s6, 1
	s_sub_i32 s19, s8, s7
	s_cmp_ge_u32 s8, s7
	s_cselect_b32 s6, s9, s6
	s_cselect_b32 s8, s19, s8
	s_add_i32 s9, s6, 1
	s_cmp_ge_u32 s8, s7
	s_cselect_b32 s20, s9, s6
	s_mul_i32 s6, s20, s7
	s_mul_i32 s1, s1, s20
	s_mul_hi_u32 s7, s0, s20
	s_sub_i32 s2, s2, s6
	s_add_i32 s1, s7, s1
	v_mad_u64_u32 v[2:3], s[6:7], s16, v1, 0
	s_mul_i32 s0, s0, s20
	v_mov_b32_e32 v4, v3
	s_lshl_b32 s19, s2, 3
	v_mad_u64_u32 v[4:5], s[6:7], s17, v1, v[4:5]
	s_lshl_b64 s[0:1], s[0:1], 4
	s_mul_i32 s2, s19, s18
	s_add_u32 s6, s12, s0
	s_addc_u32 s7, s13, s1
	s_lshl_b64 s[0:1], s[2:3], 4
	s_add_u32 s0, s6, s0
	v_mov_b32_e32 v3, v4
	s_addc_u32 s1, s7, s1
	v_lshl_add_u64 v[28:29], v[2:3], 4, s[0:1]
	v_lshl_add_u64 v[10:11], v[26:27], 4, v[28:29]
	v_add_u32_e32 v26, s18, v26
	v_lshl_add_u64 v[12:13], v[26:27], 4, v[28:29]
	v_add_u32_e32 v26, s18, v26
	;; [unrolled: 2-line block ×7, first 2 shown]
	global_load_dwordx4 v[2:5], v[10:11], off
	global_load_dwordx4 v[6:9], v[12:13], off
	s_nop 0
	global_load_dwordx4 v[10:13], v[18:19], off
	global_load_dwordx4 v[14:17], v[20:21], off
	s_nop 0
	global_load_dwordx4 v[18:21], v[30:31], off
	global_load_dwordx4 v[22:25], v[32:33], off
	v_lshl_add_u64 v[36:37], v[26:27], 4, v[28:29]
	global_load_dwordx4 v[26:29], v[34:35], off
	global_load_dwordx4 v[30:33], v[36:37], off
	v_lshlrev_b32_e32 v34, 7, v49
	v_lshlrev_b32_e32 v35, 4, v38
	v_add3_u32 v48, 0, v34, v47
	v_lshlrev_b32_e32 v34, 7, v1
	v_or_b32_e32 v36, v34, v35
	v_add3_u32 v34, 0, v34, v35
	v_add_u32_e32 v35, 0, v36
	s_load_dwordx4 s[0:3], s[10:11], 0x0
	s_load_dwordx2 s[6:7], s[10:11], 0x10
	s_mov_b32 s8, 0x667f3bcd
	s_mov_b32 s9, 0xbfe6a09e
	s_mov_b32 s11, 0x3fe6a09e
	s_mov_b32 s10, s8
	s_waitcnt lgkmcnt(0)
	s_movk_i32 s3, 0x380
	s_waitcnt vmcnt(7)
	ds_write_b128 v35, v[2:5]
	s_waitcnt vmcnt(6)
	ds_write_b128 v34, v[6:9] offset:16
	s_waitcnt vmcnt(5)
	ds_write_b128 v34, v[10:13] offset:32
	;; [unrolled: 2-line block ×7, first 2 shown]
	s_waitcnt lgkmcnt(0)
	s_barrier
	ds_read_b128 v[2:5], v48
	ds_read_b128 v[6:9], v48 offset:3072
	ds_read_b128 v[10:13], v48 offset:12288
	ds_read_b128 v[14:17], v48 offset:6144
	ds_read_b128 v[18:21], v48 offset:9216
	ds_read_b128 v[22:25], v48 offset:18432
	ds_read_b128 v[26:29], v48 offset:15360
	ds_read_b128 v[30:33], v48 offset:21504
	s_waitcnt lgkmcnt(5)
	v_add_f64 v[10:11], v[2:3], -v[10:11]
	v_add_f64 v[12:13], v[4:5], -v[12:13]
	s_waitcnt lgkmcnt(2)
	v_add_f64 v[22:23], v[14:15], -v[22:23]
	s_waitcnt lgkmcnt(1)
	;; [unrolled: 2-line block ×3, first 2 shown]
	v_add_f64 v[30:31], v[18:19], -v[30:31]
	v_add_f64 v[24:25], v[16:17], -v[24:25]
	;; [unrolled: 1-line block ×4, first 2 shown]
	v_fma_f64 v[2:3], v[2:3], 2.0, -v[10:11]
	v_fma_f64 v[14:15], v[14:15], 2.0, -v[22:23]
	;; [unrolled: 1-line block ×8, first 2 shown]
	v_add_f64 v[38:39], v[2:3], -v[14:15]
	v_add_f64 v[42:43], v[6:7], -v[18:19]
	;; [unrolled: 1-line block ×3, first 2 shown]
	v_add_f64 v[36:37], v[12:13], v[22:23]
	v_add_f64 v[32:33], v[26:27], -v[32:33]
	v_add_f64 v[30:31], v[28:29], v[30:31]
	v_add_f64 v[40:41], v[4:5], -v[16:17]
	v_add_f64 v[44:45], v[8:9], -v[20:21]
	v_fma_f64 v[2:3], v[2:3], 2.0, -v[38:39]
	v_fma_f64 v[6:7], v[6:7], 2.0, -v[42:43]
	;; [unrolled: 1-line block ×8, first 2 shown]
	v_add_f64 v[10:11], v[2:3], -v[6:7]
	v_fma_f64 v[6:7], s[10:11], v[32:33], v[34:35]
	v_add_f64 v[12:13], v[4:5], -v[8:9]
	v_fma_f64 v[18:19], s[8:9], v[26:27], v[22:23]
	v_fma_f64 v[20:21], s[8:9], v[28:29], v[24:25]
	;; [unrolled: 1-line block ×3, first 2 shown]
	v_fmac_f64_e32 v[6:7], s[8:9], v[30:31]
	v_fma_f64 v[14:15], v[2:3], 2.0, -v[10:11]
	v_fma_f64 v[16:17], v[4:5], 2.0, -v[12:13]
	v_fmac_f64_e32 v[18:19], s[8:9], v[28:29]
	v_fmac_f64_e32 v[20:21], s[10:11], v[26:27]
	v_add_f64 v[2:3], v[38:39], -v[44:45]
	v_add_f64 v[4:5], v[40:41], v[42:43]
	v_fmac_f64_e32 v[8:9], s[10:11], v[32:33]
	v_fma_f64 v[30:31], v[34:35], 2.0, -v[6:7]
	v_mad_u32_u24 v34, v49, s3, v48
	v_fma_f64 v[22:23], v[22:23], 2.0, -v[18:19]
	v_fma_f64 v[24:25], v[24:25], 2.0, -v[20:21]
	;; [unrolled: 1-line block ×5, first 2 shown]
	s_barrier
	ds_write_b128 v34, v[14:17]
	ds_write_b128 v34, v[22:25] offset:128
	ds_write_b128 v34, v[26:29] offset:256
	;; [unrolled: 1-line block ×7, first 2 shown]
	v_lshlrev_b32_e32 v10, 7, v54
	s_waitcnt lgkmcnt(0)
	s_barrier
	ds_read_b128 v[14:17], v48
	ds_read_b128 v[22:25], v48 offset:8192
	v_add3_u32 v50, 0, v10, v47
	ds_read_b128 v[26:29], v48 offset:16384
	ds_read_b128 v[30:33], v48 offset:11264
	ds_read_b128 v[10:13], v50
	ds_read_b128 v[34:37], v48 offset:19456
	s_movk_i32 s3, 0x80
	v_cmp_gt_u32_e32 vcc, s3, v0
                                        ; implicit-def: $vgpr20_vgpr21
	s_and_saveexec_b64 s[8:9], vcc
	s_cbranch_execz .LBB0_2
; %bb.1:
	v_add3_u32 v2, 0, v51, v47
	ds_read_b128 v[2:5], v2
	ds_read_b128 v[6:9], v48 offset:14336
	ds_read_b128 v[18:21], v48 offset:22528
.LBB0_2:
	s_or_b64 exec, exec, s[8:9]
	v_bfe_u32 v53, v0, 3, 3
	v_lshlrev_b32_e32 v55, 5, v53
	global_load_dwordx4 v[42:45], v55, s[4:5]
	global_load_dwordx4 v[38:41], v55, s[4:5] offset:16
	v_lshrrev_b32_e32 v55, 6, v0
	v_lshrrev_b32_e32 v54, 3, v54
	v_mul_u32_u24_e32 v55, 24, v55
	v_mul_u32_u24_e32 v54, 24, v54
	v_or_b32_e32 v55, v55, v53
	v_or_b32_e32 v54, v54, v53
	v_lshlrev_b32_e32 v55, 7, v55
	v_lshlrev_b32_e32 v54, 7, v54
	v_add3_u32 v74, 0, v55, v47
	v_add3_u32 v75, 0, v54, v47
	s_mov_b32 s8, 0xe8584caa
	s_mov_b32 s9, 0x3febb67a
	;; [unrolled: 1-line block ×4, first 2 shown]
	s_waitcnt lgkmcnt(0)
	s_barrier
	s_waitcnt vmcnt(1)
	v_mul_f64 v[54:55], v[24:25], v[44:45]
	v_mul_f64 v[56:57], v[22:23], v[44:45]
	s_waitcnt vmcnt(0)
	v_mul_f64 v[58:59], v[28:29], v[40:41]
	v_mul_f64 v[60:61], v[26:27], v[40:41]
	;; [unrolled: 1-line block ×6, first 2 shown]
	v_fma_f64 v[22:23], v[22:23], v[42:43], -v[54:55]
	v_fmac_f64_e32 v[56:57], v[24:25], v[42:43]
	v_fma_f64 v[24:25], v[26:27], v[38:39], -v[58:59]
	v_fmac_f64_e32 v[60:61], v[28:29], v[38:39]
	;; [unrolled: 2-line block ×4, first 2 shown]
	v_add_f64 v[30:31], v[14:15], v[22:23]
	v_add_f64 v[32:33], v[22:23], v[24:25]
	;; [unrolled: 1-line block ×5, first 2 shown]
	v_add_f64 v[66:67], v[64:65], -v[68:69]
	v_add_f64 v[70:71], v[12:13], v[64:65]
	v_add_f64 v[64:65], v[64:65], v[68:69]
	v_add_f64 v[34:35], v[56:57], -v[60:61]
	v_add_f64 v[56:57], v[22:23], -v[24:25]
	v_add_f64 v[58:59], v[10:11], v[26:27]
	v_add_f64 v[72:73], v[26:27], -v[28:29]
	v_add_f64 v[22:23], v[30:31], v[24:25]
	v_fmac_f64_e32 v[14:15], -0.5, v[32:33]
	v_add_f64 v[24:25], v[36:37], v[60:61]
	v_fmac_f64_e32 v[16:17], -0.5, v[54:55]
	v_fmac_f64_e32 v[10:11], -0.5, v[62:63]
	;; [unrolled: 1-line block ×3, first 2 shown]
	v_add_f64 v[26:27], v[58:59], v[28:29]
	v_add_f64 v[28:29], v[70:71], v[68:69]
	v_fma_f64 v[30:31], s[8:9], v[34:35], v[14:15]
	v_fmac_f64_e32 v[14:15], s[10:11], v[34:35]
	v_fma_f64 v[32:33], s[10:11], v[56:57], v[16:17]
	v_fmac_f64_e32 v[16:17], s[8:9], v[56:57]
	;; [unrolled: 2-line block ×4, first 2 shown]
	ds_write_b128 v74, v[22:25]
	ds_write_b128 v74, v[30:33] offset:1024
	ds_write_b128 v74, v[14:17] offset:2048
	ds_write_b128 v75, v[26:29]
	ds_write_b128 v75, v[34:37] offset:1024
	ds_write_b128 v75, v[10:13] offset:2048
	s_and_saveexec_b64 s[12:13], vcc
	s_cbranch_execz .LBB0_4
; %bb.3:
	v_mul_f64 v[22:23], v[6:7], v[44:45]
	v_mul_f64 v[10:11], v[8:9], v[44:45]
	v_fmac_f64_e32 v[22:23], v[8:9], v[42:43]
	v_mul_f64 v[8:9], v[18:19], v[40:41]
	v_fma_f64 v[12:13], v[6:7], v[42:43], -v[10:11]
	v_mul_f64 v[10:11], v[20:21], v[40:41]
	v_fmac_f64_e32 v[8:9], v[20:21], v[38:39]
	v_fma_f64 v[16:17], v[18:19], v[38:39], -v[10:11]
	v_add_f64 v[6:7], v[22:23], v[8:9]
	v_add_f64 v[14:15], v[12:13], -v[16:17]
	v_fma_f64 v[6:7], -0.5, v[6:7], v[4:5]
	v_add_f64 v[4:5], v[4:5], v[22:23]
	v_fma_f64 v[10:11], s[8:9], v[14:15], v[6:7]
	v_fmac_f64_e32 v[6:7], s[10:11], v[14:15]
	v_add_f64 v[14:15], v[4:5], v[8:9]
	v_add_f64 v[4:5], v[12:13], v[16:17]
	v_fma_f64 v[4:5], -0.5, v[4:5], v[2:3]
	v_add_f64 v[2:3], v[2:3], v[12:13]
	v_add_f64 v[12:13], v[2:3], v[16:17]
	v_lshrrev_b32_e32 v2, 3, v52
	v_mul_u32_u24_e32 v2, 24, v2
	v_or_b32_e32 v2, v2, v53
	v_lshlrev_b32_e32 v2, 7, v2
	v_add_f64 v[18:19], v[22:23], -v[8:9]
	v_add3_u32 v2, 0, v2, v47
	v_fma_f64 v[8:9], s[10:11], v[18:19], v[4:5]
	v_fmac_f64_e32 v[4:5], s[8:9], v[18:19]
	ds_write_b128 v2, v[12:15]
	ds_write_b128 v2, v[4:7] offset:1024
	ds_write_b128 v2, v[8:11] offset:2048
.LBB0_4:
	s_or_b64 exec, exec, s[12:13]
	v_mul_lo_u16_e32 v2, 11, v49
	v_mov_b32_e32 v3, 24
	v_mul_lo_u16_sdwa v2, v2, v3 dst_sel:DWORD dst_unused:UNUSED_PAD src0_sel:BYTE_1 src1_sel:DWORD
	v_sub_u16_e32 v70, v49, v2
	v_mov_b32_e32 v2, 7
	v_mul_u32_u24_sdwa v2, v70, v2 dst_sel:DWORD dst_unused:UNUSED_PAD src0_sel:BYTE_0 src1_sel:DWORD
	v_lshlrev_b32_e32 v30, 4, v2
	s_waitcnt lgkmcnt(0)
	s_barrier
	global_load_dwordx4 v[2:5], v30, s[4:5] offset:256
	global_load_dwordx4 v[6:9], v30, s[4:5] offset:272
	;; [unrolled: 1-line block ×7, first 2 shown]
	v_and_b32_e32 v38, 0xf8, v0
	ds_read_b128 v[30:33], v48
	ds_read_b128 v[34:37], v50
	v_add3_u32 v39, 0, v51, v47
	v_lshlrev_b32_e32 v38, 4, v38
	v_add3_u32 v47, 0, v38, v47
	ds_read_b128 v[38:41], v39
	ds_read_b128 v[42:45], v47 offset:9216
	ds_read_b128 v[48:51], v47 offset:12288
	;; [unrolled: 1-line block ×5, first 2 shown]
	s_mul_i32 s3, s7, s20
	s_mul_hi_u32 s5, s6, s20
	s_mul_i32 s4, s6, s20
	s_mov_b32 s6, 0x667f3bcd
	s_mov_b32 s7, 0xbfe6a09e
	;; [unrolled: 1-line block ×4, first 2 shown]
	s_add_i32 s5, s5, s3
	v_sub_u32_e32 v0, v0, v1
	v_add_u32_sdwa v0, v0, v70 dst_sel:DWORD dst_unused:UNUSED_PAD src0_sel:DWORD src1_sel:BYTE_0
	v_mul_lo_u32 v0, v0, s2
	v_mov_b32_e32 v1, 0
	s_waitcnt vmcnt(6) lgkmcnt(6)
	v_mul_f64 v[64:65], v[36:37], v[4:5]
	v_mul_f64 v[4:5], v[34:35], v[4:5]
	s_waitcnt vmcnt(5) lgkmcnt(5)
	v_mul_f64 v[66:67], v[40:41], v[8:9]
	v_mul_f64 v[8:9], v[38:39], v[8:9]
	v_fma_f64 v[34:35], v[34:35], v[2:3], -v[64:65]
	v_fmac_f64_e32 v[4:5], v[36:37], v[2:3]
	s_waitcnt vmcnt(3) lgkmcnt(3)
	v_mul_f64 v[2:3], v[50:51], v[16:17]
	v_fma_f64 v[38:39], v[38:39], v[6:7], -v[66:67]
	v_fmac_f64_e32 v[8:9], v[40:41], v[6:7]
	s_waitcnt vmcnt(1) lgkmcnt(1)
	v_mul_f64 v[6:7], v[58:59], v[24:25]
	v_mul_f64 v[68:69], v[44:45], v[12:13]
	;; [unrolled: 1-line block ×5, first 2 shown]
	s_waitcnt vmcnt(0) lgkmcnt(0)
	v_mul_f64 v[40:41], v[62:63], v[28:29]
	v_mul_f64 v[28:29], v[60:61], v[28:29]
	v_fma_f64 v[2:3], v[48:49], v[14:15], -v[2:3]
	v_fma_f64 v[6:7], v[56:57], v[22:23], -v[6:7]
	v_mul_f64 v[16:17], v[48:49], v[16:17]
	v_mul_f64 v[20:21], v[52:53], v[20:21]
	v_fma_f64 v[42:43], v[42:43], v[10:11], -v[68:69]
	v_fmac_f64_e32 v[12:13], v[44:45], v[10:11]
	v_fma_f64 v[10:11], v[52:53], v[18:19], -v[36:37]
	v_fmac_f64_e32 v[24:25], v[58:59], v[22:23]
	v_fmac_f64_e32 v[28:29], v[62:63], v[26:27]
	v_add_f64 v[2:3], v[30:31], -v[2:3]
	v_add_f64 v[6:7], v[38:39], -v[6:7]
	v_fmac_f64_e32 v[16:17], v[50:51], v[14:15]
	v_fmac_f64_e32 v[20:21], v[54:55], v[18:19]
	v_fma_f64 v[14:15], v[60:61], v[26:27], -v[40:41]
	v_add_f64 v[18:19], v[8:9], -v[24:25]
	v_add_f64 v[10:11], v[34:35], -v[10:11]
	v_add_f64 v[22:23], v[12:13], -v[28:29]
	v_fma_f64 v[24:25], v[30:31], 2.0, -v[2:3]
	v_fma_f64 v[28:29], v[38:39], 2.0, -v[6:7]
	v_add_f64 v[16:17], v[32:33], -v[16:17]
	v_add_f64 v[20:21], v[4:5], -v[20:21]
	v_add_f64 v[14:15], v[42:43], -v[14:15]
	v_fma_f64 v[30:31], v[34:35], 2.0, -v[10:11]
	v_fma_f64 v[12:13], v[12:13], 2.0, -v[22:23]
	;; [unrolled: 5-line block ×3, first 2 shown]
	v_fma_f64 v[32:33], v[42:43], 2.0, -v[14:15]
	v_add_f64 v[36:37], v[16:17], v[6:7]
	v_add_f64 v[40:41], v[20:21], v[14:15]
	v_fma_f64 v[14:15], v[2:3], 2.0, -v[34:35]
	v_fma_f64 v[6:7], v[24:25], 2.0, -v[22:23]
	;; [unrolled: 1-line block ×4, first 2 shown]
	v_add_f64 v[28:29], v[26:27], -v[8:9]
	v_fma_f64 v[16:17], v[16:17], 2.0, -v[36:37]
	v_add_f64 v[32:33], v[30:31], -v[32:33]
	v_fma_f64 v[20:21], v[20:21], 2.0, -v[40:41]
	v_fma_f64 v[10:11], s[6:7], v[24:25], v[14:15]
	v_add_f64 v[18:19], v[4:5], -v[12:13]
	v_fma_f64 v[12:13], s[6:7], v[20:21], v[16:17]
	v_fmac_f64_e32 v[10:11], s[6:7], v[20:21]
	v_add_f64 v[20:21], v[28:29], v[32:33]
	v_fma_f64 v[8:9], v[26:27], 2.0, -v[28:29]
	v_fmac_f64_e32 v[12:13], s[8:9], v[24:25]
	v_fma_f64 v[24:25], v[28:29], 2.0, -v[20:21]
	v_fma_f64 v[28:29], s[8:9], v[40:41], v[36:37]
	v_fma_f64 v[26:27], s[8:9], v[38:39], v[34:35]
	v_fmac_f64_e32 v[28:29], s[8:9], v[38:39]
	v_fma_f64 v[2:3], v[30:31], 2.0, -v[32:33]
	v_fmac_f64_e32 v[26:27], s[6:7], v[40:41]
	v_fma_f64 v[32:33], v[36:37], 2.0, -v[28:29]
	v_or_b32_e32 v37, s19, v46
	v_fma_f64 v[30:31], v[34:35], 2.0, -v[26:27]
	v_mad_u64_u32 v[34:35], s[6:7], s0, v37, 0
	v_mov_b32_e32 v36, v35
	v_mad_u64_u32 v[36:37], s[0:1], s1, v37, v[36:37]
	s_lshl_b64 s[0:1], s[4:5], 4
	s_add_u32 s0, s0, s14
	v_fma_f64 v[4:5], v[4:5], 2.0, -v[18:19]
	v_mov_b32_e32 v35, v36
	s_addc_u32 s1, s1, s15
	v_add_f64 v[2:3], v[6:7], -v[2:3]
	v_add_f64 v[4:5], v[8:9], -v[4:5]
	v_lshl_add_u64 v[34:35], v[34:35], 4, s[0:1]
	s_mul_i32 s0, s2, 24
	v_fma_f64 v[6:7], v[6:7], 2.0, -v[2:3]
	v_fma_f64 v[8:9], v[8:9], 2.0, -v[4:5]
	v_lshl_add_u64 v[36:37], v[0:1], 4, v[34:35]
	v_add_u32_e32 v0, s0, v0
	v_fma_f64 v[14:15], v[14:15], 2.0, -v[10:11]
	v_fma_f64 v[16:17], v[16:17], 2.0, -v[12:13]
	v_add_f64 v[18:19], v[22:23], -v[18:19]
	global_store_dwordx4 v[36:37], v[6:9], off
	v_fma_f64 v[22:23], v[22:23], 2.0, -v[18:19]
	s_nop 0
	v_lshl_add_u64 v[6:7], v[0:1], 4, v[34:35]
	v_add_u32_e32 v0, s0, v0
	global_store_dwordx4 v[6:7], v[14:17], off
	v_lshl_add_u64 v[6:7], v[0:1], 4, v[34:35]
	v_add_u32_e32 v0, s0, v0
	global_store_dwordx4 v[6:7], v[22:25], off
	;; [unrolled: 3-line block ×4, first 2 shown]
	s_nop 1
	v_lshl_add_u64 v[2:3], v[0:1], 4, v[34:35]
	v_add_u32_e32 v0, s0, v0
	global_store_dwordx4 v[2:3], v[10:13], off
	v_lshl_add_u64 v[2:3], v[0:1], 4, v[34:35]
	v_add_u32_e32 v0, s0, v0
	v_lshl_add_u64 v[0:1], v[0:1], 4, v[34:35]
	global_store_dwordx4 v[2:3], v[18:21], off
	global_store_dwordx4 v[0:1], v[26:29], off
	s_endpgm
	.section	.rodata,"a",@progbits
	.p2align	6, 0x0
	.amdhsa_kernel fft_rtc_fwd_len192_factors_8_3_8_wgs_192_tpt_24_dim2_dp_op_CI_CI_sbrc_aligned_dirReg
		.amdhsa_group_segment_fixed_size 0
		.amdhsa_private_segment_fixed_size 0
		.amdhsa_kernarg_size 96
		.amdhsa_user_sgpr_count 2
		.amdhsa_user_sgpr_dispatch_ptr 0
		.amdhsa_user_sgpr_queue_ptr 0
		.amdhsa_user_sgpr_kernarg_segment_ptr 1
		.amdhsa_user_sgpr_dispatch_id 0
		.amdhsa_user_sgpr_kernarg_preload_length 0
		.amdhsa_user_sgpr_kernarg_preload_offset 0
		.amdhsa_user_sgpr_private_segment_size 0
		.amdhsa_uses_dynamic_stack 0
		.amdhsa_enable_private_segment 0
		.amdhsa_system_sgpr_workgroup_id_x 1
		.amdhsa_system_sgpr_workgroup_id_y 0
		.amdhsa_system_sgpr_workgroup_id_z 0
		.amdhsa_system_sgpr_workgroup_info 0
		.amdhsa_system_vgpr_workitem_id 0
		.amdhsa_next_free_vgpr 76
		.amdhsa_next_free_sgpr 21
		.amdhsa_accum_offset 76
		.amdhsa_reserve_vcc 1
		.amdhsa_float_round_mode_32 0
		.amdhsa_float_round_mode_16_64 0
		.amdhsa_float_denorm_mode_32 3
		.amdhsa_float_denorm_mode_16_64 3
		.amdhsa_dx10_clamp 1
		.amdhsa_ieee_mode 1
		.amdhsa_fp16_overflow 0
		.amdhsa_tg_split 0
		.amdhsa_exception_fp_ieee_invalid_op 0
		.amdhsa_exception_fp_denorm_src 0
		.amdhsa_exception_fp_ieee_div_zero 0
		.amdhsa_exception_fp_ieee_overflow 0
		.amdhsa_exception_fp_ieee_underflow 0
		.amdhsa_exception_fp_ieee_inexact 0
		.amdhsa_exception_int_div_zero 0
	.end_amdhsa_kernel
	.text
.Lfunc_end0:
	.size	fft_rtc_fwd_len192_factors_8_3_8_wgs_192_tpt_24_dim2_dp_op_CI_CI_sbrc_aligned_dirReg, .Lfunc_end0-fft_rtc_fwd_len192_factors_8_3_8_wgs_192_tpt_24_dim2_dp_op_CI_CI_sbrc_aligned_dirReg
                                        ; -- End function
	.section	.AMDGPU.csdata,"",@progbits
; Kernel info:
; codeLenInByte = 3116
; NumSgprs: 27
; NumVgprs: 76
; NumAgprs: 0
; TotalNumVgprs: 76
; ScratchSize: 0
; MemoryBound: 0
; FloatMode: 240
; IeeeMode: 1
; LDSByteSize: 0 bytes/workgroup (compile time only)
; SGPRBlocks: 3
; VGPRBlocks: 9
; NumSGPRsForWavesPerEU: 27
; NumVGPRsForWavesPerEU: 76
; AccumOffset: 76
; Occupancy: 6
; WaveLimiterHint : 1
; COMPUTE_PGM_RSRC2:SCRATCH_EN: 0
; COMPUTE_PGM_RSRC2:USER_SGPR: 2
; COMPUTE_PGM_RSRC2:TRAP_HANDLER: 0
; COMPUTE_PGM_RSRC2:TGID_X_EN: 1
; COMPUTE_PGM_RSRC2:TGID_Y_EN: 0
; COMPUTE_PGM_RSRC2:TGID_Z_EN: 0
; COMPUTE_PGM_RSRC2:TIDIG_COMP_CNT: 0
; COMPUTE_PGM_RSRC3_GFX90A:ACCUM_OFFSET: 18
; COMPUTE_PGM_RSRC3_GFX90A:TG_SPLIT: 0
	.text
	.p2alignl 6, 3212836864
	.fill 256, 4, 3212836864
	.type	__hip_cuid_5ef2b54c33aa3e28,@object ; @__hip_cuid_5ef2b54c33aa3e28
	.section	.bss,"aw",@nobits
	.globl	__hip_cuid_5ef2b54c33aa3e28
__hip_cuid_5ef2b54c33aa3e28:
	.byte	0                               ; 0x0
	.size	__hip_cuid_5ef2b54c33aa3e28, 1

	.ident	"AMD clang version 19.0.0git (https://github.com/RadeonOpenCompute/llvm-project roc-6.4.0 25133 c7fe45cf4b819c5991fe208aaa96edf142730f1d)"
	.section	".note.GNU-stack","",@progbits
	.addrsig
	.addrsig_sym __hip_cuid_5ef2b54c33aa3e28
	.amdgpu_metadata
---
amdhsa.kernels:
  - .agpr_count:     0
    .args:
      - .actual_access:  read_only
        .address_space:  global
        .offset:         0
        .size:           8
        .value_kind:     global_buffer
      - .actual_access:  read_only
        .address_space:  global
        .offset:         8
        .size:           8
        .value_kind:     global_buffer
      - .actual_access:  read_only
        .address_space:  global
        .offset:         16
        .size:           8
        .value_kind:     global_buffer
      - .actual_access:  read_only
        .address_space:  global
        .offset:         24
        .size:           8
        .value_kind:     global_buffer
      - .offset:         32
        .size:           8
        .value_kind:     by_value
      - .actual_access:  read_only
        .address_space:  global
        .offset:         40
        .size:           8
        .value_kind:     global_buffer
      - .actual_access:  read_only
        .address_space:  global
        .offset:         48
        .size:           8
        .value_kind:     global_buffer
      - .offset:         56
        .size:           4
        .value_kind:     by_value
      - .actual_access:  read_only
        .address_space:  global
        .offset:         64
        .size:           8
        .value_kind:     global_buffer
      - .actual_access:  read_only
        .address_space:  global
        .offset:         72
        .size:           8
        .value_kind:     global_buffer
      - .actual_access:  read_only
        .address_space:  global
        .offset:         80
        .size:           8
        .value_kind:     global_buffer
      - .actual_access:  write_only
        .address_space:  global
        .offset:         88
        .size:           8
        .value_kind:     global_buffer
    .group_segment_fixed_size: 0
    .kernarg_segment_align: 8
    .kernarg_segment_size: 96
    .language:       OpenCL C
    .language_version:
      - 2
      - 0
    .max_flat_workgroup_size: 192
    .name:           fft_rtc_fwd_len192_factors_8_3_8_wgs_192_tpt_24_dim2_dp_op_CI_CI_sbrc_aligned_dirReg
    .private_segment_fixed_size: 0
    .sgpr_count:     27
    .sgpr_spill_count: 0
    .symbol:         fft_rtc_fwd_len192_factors_8_3_8_wgs_192_tpt_24_dim2_dp_op_CI_CI_sbrc_aligned_dirReg.kd
    .uniform_work_group_size: 1
    .uses_dynamic_stack: false
    .vgpr_count:     76
    .vgpr_spill_count: 0
    .wavefront_size: 64
amdhsa.target:   amdgcn-amd-amdhsa--gfx950
amdhsa.version:
  - 1
  - 2
...

	.end_amdgpu_metadata
